;; amdgpu-corpus repo=zjin-lcf/HeCBench kind=compiled arch=gfx906 opt=O3
	.amdgcn_target "amdgcn-amd-amdhsa--gfx906"
	.amdhsa_code_object_version 6
	.text
	.protected	_Z8lb_keoghPKfS0_S0_PfS0_S0_ii ; -- Begin function _Z8lb_keoghPKfS0_S0_PfS0_S0_ii
	.globl	_Z8lb_keoghPKfS0_S0_PfS0_S0_ii
	.p2align	8
	.type	_Z8lb_keoghPKfS0_S0_PfS0_S0_ii,@function
_Z8lb_keoghPKfS0_S0_PfS0_S0_ii:         ; @_Z8lb_keoghPKfS0_S0_PfS0_S0_ii
; %bb.0:
	s_load_dword s7, s[4:5], 0x44
	s_load_dwordx4 s[0:3], s[4:5], 0x28
	s_load_dwordx8 s[8:15], s[4:5], 0x8
	s_waitcnt lgkmcnt(0)
	s_and_b32 s21, s7, 0xffff
	s_add_i32 s22, s2, s21
	s_mul_i32 s20, s6, s21
	v_cmp_gt_u32_e32 vcc, s22, v0
	s_and_saveexec_b64 s[6:7], vcc
	s_cbranch_execz .LBB0_5
; %bb.1:
	s_load_dwordx2 s[4:5], s[4:5], 0x0
	v_lshl_add_u32 v3, v0, 2, 0
	s_lshl_b32 s23, s21, 2
	s_mov_b64 s[16:17], 0
	v_mov_b32_e32 v4, v0
	s_branch .LBB0_3
.LBB0_2:                                ;   in Loop: Header=BB0_3 Depth=1
	s_or_b64 exec, exec, s[18:19]
	v_add_u32_e32 v4, s21, v4
	v_cmp_le_u32_e32 vcc, s22, v4
	s_or_b64 s[16:17], vcc, s[16:17]
	v_add_u32_e32 v3, s23, v3
	s_andn2_b64 exec, exec, s[16:17]
	s_cbranch_execz .LBB0_5
.LBB0_3:                                ; =>This Inner Loop Header: Depth=1
	v_add_u32_e32 v1, s20, v4
	v_cmp_gt_i32_e32 vcc, s3, v1
	s_and_saveexec_b64 s[18:19], vcc
	s_cbranch_execz .LBB0_2
; %bb.4:                                ;   in Loop: Header=BB0_3 Depth=1
	v_ashrrev_i32_e32 v2, 31, v1
	v_lshlrev_b64 v[1:2], 2, v[1:2]
	s_waitcnt lgkmcnt(0)
	v_mov_b32_e32 v5, s5
	v_add_co_u32_e32 v1, vcc, s4, v1
	v_addc_co_u32_e32 v2, vcc, v5, v2, vcc
	global_load_dword v1, v[1:2], off
	s_waitcnt vmcnt(0)
	ds_write_b32 v3, v1
	s_branch .LBB0_2
.LBB0_5:
	s_or_b64 exec, exec, s[6:7]
	v_add_u32_e32 v1, s20, v0
	s_sub_i32 s3, s3, s2
	v_cmp_ge_i32_e32 vcc, s3, v1
	s_waitcnt lgkmcnt(0)
	s_barrier
	s_and_saveexec_b64 s[4:5], vcc
	s_cbranch_execz .LBB0_11
; %bb.6:
	v_ashrrev_i32_e32 v2, 31, v1
	v_lshlrev_b64 v[1:2], 2, v[1:2]
	s_cmp_lt_i32 s2, 1
	s_cbranch_scc1 .LBB0_9
; %bb.7:
	v_mov_b32_e32 v4, s9
	v_add_co_u32_e32 v3, vcc, s8, v1
	v_addc_co_u32_e32 v4, vcc, v4, v2, vcc
	global_load_dword v3, v[3:4], off
	v_mov_b32_e32 v5, s11
	v_add_co_u32_e32 v4, vcc, s10, v1
	v_addc_co_u32_e32 v5, vcc, v5, v2, vcc
	global_load_dword v4, v[4:5], off
	v_lshl_add_u32 v5, v0, 2, 0
	v_mov_b32_e32 v0, 0
.LBB0_8:                                ; =>This Inner Loop Header: Depth=1
	ds_read_b32 v6, v5
	s_add_i32 s2, s2, -1
	v_add_u32_e32 v5, 4, v5
	s_waitcnt vmcnt(1) lgkmcnt(0)
	v_sub_f32_e32 v6, v6, v3
	s_waitcnt vmcnt(0)
	v_div_scale_f32 v7, s[4:5], v4, v4, v6
	v_div_scale_f32 v8, vcc, v6, v4, v6
	s_load_dword s3, s[14:15], 0x0
	s_load_dword s4, s[0:1], 0x0
	s_add_u32 s14, s14, 4
	s_addc_u32 s15, s15, 0
	s_add_u32 s0, s0, 4
	s_addc_u32 s1, s1, 0
	s_cmp_eq_u32 s2, 0
	v_rcp_f32_e32 v9, v7
	v_fma_f32 v10, -v7, v9, 1.0
	v_fmac_f32_e32 v9, v10, v9
	v_mul_f32_e32 v10, v8, v9
	v_fma_f32 v11, -v7, v10, v8
	v_fmac_f32_e32 v10, v11, v9
	v_fma_f32 v7, -v7, v10, v8
	v_div_fmas_f32 v7, v7, v9, v10
	v_div_fixup_f32 v6, v7, v4, v6
	s_waitcnt lgkmcnt(0)
	v_subrev_f32_e32 v7, s3, v6
	v_subrev_f32_e32 v6, s4, v6
	v_cmp_lt_f32_e32 vcc, 0, v6
	v_mul_f32_e32 v8, v6, v6
	v_cndmask_b32_e64 v6, 0, 1.0, vcc
	v_cmp_gt_f32_e32 vcc, 0, v7
	v_mul_f32_e32 v9, v7, v7
	v_cndmask_b32_e64 v7, 0, 1.0, vcc
	v_mul_f32_e32 v7, v9, v7
	v_fmac_f32_e32 v7, v8, v6
	v_add_f32_e32 v0, v0, v7
	s_cbranch_scc0 .LBB0_8
	s_branch .LBB0_10
.LBB0_9:
	v_mov_b32_e32 v0, 0
.LBB0_10:
	v_mov_b32_e32 v3, s13
	v_add_co_u32_e32 v1, vcc, s12, v1
	v_addc_co_u32_e32 v2, vcc, v3, v2, vcc
	global_store_dword v[1:2], v0, off
.LBB0_11:
	s_endpgm
	.section	.rodata,"a",@progbits
	.p2align	6, 0x0
	.amdhsa_kernel _Z8lb_keoghPKfS0_S0_PfS0_S0_ii
		.amdhsa_group_segment_fixed_size 0
		.amdhsa_private_segment_fixed_size 0
		.amdhsa_kernarg_size 312
		.amdhsa_user_sgpr_count 6
		.amdhsa_user_sgpr_private_segment_buffer 1
		.amdhsa_user_sgpr_dispatch_ptr 0
		.amdhsa_user_sgpr_queue_ptr 0
		.amdhsa_user_sgpr_kernarg_segment_ptr 1
		.amdhsa_user_sgpr_dispatch_id 0
		.amdhsa_user_sgpr_flat_scratch_init 0
		.amdhsa_user_sgpr_private_segment_size 0
		.amdhsa_uses_dynamic_stack 0
		.amdhsa_system_sgpr_private_segment_wavefront_offset 0
		.amdhsa_system_sgpr_workgroup_id_x 1
		.amdhsa_system_sgpr_workgroup_id_y 0
		.amdhsa_system_sgpr_workgroup_id_z 0
		.amdhsa_system_sgpr_workgroup_info 0
		.amdhsa_system_vgpr_workitem_id 0
		.amdhsa_next_free_vgpr 12
		.amdhsa_next_free_sgpr 24
		.amdhsa_reserve_vcc 1
		.amdhsa_reserve_flat_scratch 0
		.amdhsa_float_round_mode_32 0
		.amdhsa_float_round_mode_16_64 0
		.amdhsa_float_denorm_mode_32 3
		.amdhsa_float_denorm_mode_16_64 3
		.amdhsa_dx10_clamp 1
		.amdhsa_ieee_mode 1
		.amdhsa_fp16_overflow 0
		.amdhsa_exception_fp_ieee_invalid_op 0
		.amdhsa_exception_fp_denorm_src 0
		.amdhsa_exception_fp_ieee_div_zero 0
		.amdhsa_exception_fp_ieee_overflow 0
		.amdhsa_exception_fp_ieee_underflow 0
		.amdhsa_exception_fp_ieee_inexact 0
		.amdhsa_exception_int_div_zero 0
	.end_amdhsa_kernel
	.text
.Lfunc_end0:
	.size	_Z8lb_keoghPKfS0_S0_PfS0_S0_ii, .Lfunc_end0-_Z8lb_keoghPKfS0_S0_PfS0_S0_ii
                                        ; -- End function
	.set _Z8lb_keoghPKfS0_S0_PfS0_S0_ii.num_vgpr, 12
	.set _Z8lb_keoghPKfS0_S0_PfS0_S0_ii.num_agpr, 0
	.set _Z8lb_keoghPKfS0_S0_PfS0_S0_ii.numbered_sgpr, 24
	.set _Z8lb_keoghPKfS0_S0_PfS0_S0_ii.num_named_barrier, 0
	.set _Z8lb_keoghPKfS0_S0_PfS0_S0_ii.private_seg_size, 0
	.set _Z8lb_keoghPKfS0_S0_PfS0_S0_ii.uses_vcc, 1
	.set _Z8lb_keoghPKfS0_S0_PfS0_S0_ii.uses_flat_scratch, 0
	.set _Z8lb_keoghPKfS0_S0_PfS0_S0_ii.has_dyn_sized_stack, 0
	.set _Z8lb_keoghPKfS0_S0_PfS0_S0_ii.has_recursion, 0
	.set _Z8lb_keoghPKfS0_S0_PfS0_S0_ii.has_indirect_call, 0
	.section	.AMDGPU.csdata,"",@progbits
; Kernel info:
; codeLenInByte = 516
; TotalNumSgprs: 28
; NumVgprs: 12
; ScratchSize: 0
; MemoryBound: 0
; FloatMode: 240
; IeeeMode: 1
; LDSByteSize: 0 bytes/workgroup (compile time only)
; SGPRBlocks: 3
; VGPRBlocks: 2
; NumSGPRsForWavesPerEU: 28
; NumVGPRsForWavesPerEU: 12
; Occupancy: 10
; WaveLimiterHint : 0
; COMPUTE_PGM_RSRC2:SCRATCH_EN: 0
; COMPUTE_PGM_RSRC2:USER_SGPR: 6
; COMPUTE_PGM_RSRC2:TRAP_HANDLER: 0
; COMPUTE_PGM_RSRC2:TGID_X_EN: 1
; COMPUTE_PGM_RSRC2:TGID_Y_EN: 0
; COMPUTE_PGM_RSRC2:TGID_Z_EN: 0
; COMPUTE_PGM_RSRC2:TIDIG_COMP_CNT: 0
	.section	.AMDGPU.gpr_maximums,"",@progbits
	.set amdgpu.max_num_vgpr, 0
	.set amdgpu.max_num_agpr, 0
	.set amdgpu.max_num_sgpr, 0
	.section	.AMDGPU.csdata,"",@progbits
	.type	__hip_cuid_96114a097f92045a,@object ; @__hip_cuid_96114a097f92045a
	.section	.bss,"aw",@nobits
	.globl	__hip_cuid_96114a097f92045a
__hip_cuid_96114a097f92045a:
	.byte	0                               ; 0x0
	.size	__hip_cuid_96114a097f92045a, 1

	.ident	"AMD clang version 22.0.0git (https://github.com/RadeonOpenCompute/llvm-project roc-7.2.4 26084 f58b06dce1f9c15707c5f808fd002e18c2accf7e)"
	.section	".note.GNU-stack","",@progbits
	.addrsig
	.addrsig_sym __hip_cuid_96114a097f92045a
	.amdgpu_metadata
---
amdhsa.kernels:
  - .args:
      - .actual_access:  read_only
        .address_space:  global
        .offset:         0
        .size:           8
        .value_kind:     global_buffer
      - .actual_access:  read_only
        .address_space:  global
        .offset:         8
        .size:           8
        .value_kind:     global_buffer
      - .actual_access:  read_only
        .address_space:  global
        .offset:         16
        .size:           8
        .value_kind:     global_buffer
      - .actual_access:  write_only
        .address_space:  global
        .offset:         24
        .size:           8
        .value_kind:     global_buffer
      - .actual_access:  read_only
        .address_space:  global
        .offset:         32
        .size:           8
        .value_kind:     global_buffer
      - .actual_access:  read_only
        .address_space:  global
        .offset:         40
        .size:           8
        .value_kind:     global_buffer
      - .offset:         48
        .size:           4
        .value_kind:     by_value
      - .offset:         52
        .size:           4
        .value_kind:     by_value
      - .offset:         56
        .size:           4
        .value_kind:     hidden_block_count_x
      - .offset:         60
        .size:           4
        .value_kind:     hidden_block_count_y
      - .offset:         64
        .size:           4
        .value_kind:     hidden_block_count_z
      - .offset:         68
        .size:           2
        .value_kind:     hidden_group_size_x
      - .offset:         70
        .size:           2
        .value_kind:     hidden_group_size_y
      - .offset:         72
        .size:           2
        .value_kind:     hidden_group_size_z
      - .offset:         74
        .size:           2
        .value_kind:     hidden_remainder_x
      - .offset:         76
        .size:           2
        .value_kind:     hidden_remainder_y
      - .offset:         78
        .size:           2
        .value_kind:     hidden_remainder_z
      - .offset:         96
        .size:           8
        .value_kind:     hidden_global_offset_x
      - .offset:         104
        .size:           8
        .value_kind:     hidden_global_offset_y
      - .offset:         112
        .size:           8
        .value_kind:     hidden_global_offset_z
      - .offset:         120
        .size:           2
        .value_kind:     hidden_grid_dims
      - .offset:         176
        .size:           4
        .value_kind:     hidden_dynamic_lds_size
    .group_segment_fixed_size: 0
    .kernarg_segment_align: 8
    .kernarg_segment_size: 312
    .language:       OpenCL C
    .language_version:
      - 2
      - 0
    .max_flat_workgroup_size: 1024
    .name:           _Z8lb_keoghPKfS0_S0_PfS0_S0_ii
    .private_segment_fixed_size: 0
    .sgpr_count:     28
    .sgpr_spill_count: 0
    .symbol:         _Z8lb_keoghPKfS0_S0_PfS0_S0_ii.kd
    .uniform_work_group_size: 1
    .uses_dynamic_stack: false
    .vgpr_count:     12
    .vgpr_spill_count: 0
    .wavefront_size: 64
amdhsa.target:   amdgcn-amd-amdhsa--gfx906
amdhsa.version:
  - 1
  - 2
...

	.end_amdgpu_metadata
